;; amdgpu-corpus repo=ROCm/rocFFT kind=compiled arch=gfx950 opt=O3
	.text
	.amdgcn_target "amdgcn-amd-amdhsa--gfx950"
	.amdhsa_code_object_version 6
	.protected	fft_rtc_back_len1250_factors_5_10_5_5_wgs_250_tpt_250_halfLds_sp_ip_CI_unitstride_sbrr_R2C_dirReg ; -- Begin function fft_rtc_back_len1250_factors_5_10_5_5_wgs_250_tpt_250_halfLds_sp_ip_CI_unitstride_sbrr_R2C_dirReg
	.globl	fft_rtc_back_len1250_factors_5_10_5_5_wgs_250_tpt_250_halfLds_sp_ip_CI_unitstride_sbrr_R2C_dirReg
	.p2align	8
	.type	fft_rtc_back_len1250_factors_5_10_5_5_wgs_250_tpt_250_halfLds_sp_ip_CI_unitstride_sbrr_R2C_dirReg,@function
fft_rtc_back_len1250_factors_5_10_5_5_wgs_250_tpt_250_halfLds_sp_ip_CI_unitstride_sbrr_R2C_dirReg: ; @fft_rtc_back_len1250_factors_5_10_5_5_wgs_250_tpt_250_halfLds_sp_ip_CI_unitstride_sbrr_R2C_dirReg
; %bb.0:
	s_load_dwordx2 s[8:9], s[0:1], 0x50
	s_load_dwordx4 s[4:7], s[0:1], 0x0
	s_load_dwordx2 s[10:11], s[0:1], 0x18
	v_mul_u32_u24_e32 v1, 0x107, v0
	v_add_u32_sdwa v6, s2, v1 dst_sel:DWORD dst_unused:UNUSED_PAD src0_sel:DWORD src1_sel:WORD_1
	v_mov_b32_e32 v4, 0
	s_waitcnt lgkmcnt(0)
	v_cmp_lt_u64_e64 s[2:3], s[6:7], 2
	v_mov_b32_e32 v7, v4
	s_and_b64 vcc, exec, s[2:3]
	v_mov_b64_e32 v[2:3], 0
	s_cbranch_vccnz .LBB0_8
; %bb.1:
	s_load_dwordx2 s[2:3], s[0:1], 0x10
	s_add_u32 s12, s10, 8
	s_addc_u32 s13, s11, 0
	s_mov_b64 s[14:15], 1
	v_mov_b64_e32 v[2:3], 0
	s_waitcnt lgkmcnt(0)
	s_add_u32 s16, s2, 8
	s_addc_u32 s17, s3, 0
.LBB0_2:                                ; =>This Inner Loop Header: Depth=1
	s_load_dwordx2 s[18:19], s[16:17], 0x0
                                        ; implicit-def: $vgpr8_vgpr9
	s_waitcnt lgkmcnt(0)
	v_or_b32_e32 v5, s19, v7
	v_cmp_ne_u64_e32 vcc, 0, v[4:5]
	s_and_saveexec_b64 s[2:3], vcc
	s_xor_b64 s[20:21], exec, s[2:3]
	s_cbranch_execz .LBB0_4
; %bb.3:                                ;   in Loop: Header=BB0_2 Depth=1
	v_cvt_f32_u32_e32 v1, s18
	v_cvt_f32_u32_e32 v5, s19
	s_sub_u32 s2, 0, s18
	s_subb_u32 s3, 0, s19
	v_fmac_f32_e32 v1, 0x4f800000, v5
	v_rcp_f32_e32 v1, v1
	s_nop 0
	v_mul_f32_e32 v1, 0x5f7ffffc, v1
	v_mul_f32_e32 v5, 0x2f800000, v1
	v_trunc_f32_e32 v5, v5
	v_fmac_f32_e32 v1, 0xcf800000, v5
	v_cvt_u32_f32_e32 v5, v5
	v_cvt_u32_f32_e32 v1, v1
	v_mul_lo_u32 v8, s2, v5
	v_mul_hi_u32 v10, s2, v1
	v_mul_lo_u32 v9, s3, v1
	v_add_u32_e32 v10, v10, v8
	v_mul_lo_u32 v12, s2, v1
	v_add_u32_e32 v13, v10, v9
	v_mul_hi_u32 v8, v1, v12
	v_mul_hi_u32 v11, v1, v13
	v_mul_lo_u32 v10, v1, v13
	v_mov_b32_e32 v9, v4
	v_lshl_add_u64 v[8:9], v[8:9], 0, v[10:11]
	v_mul_hi_u32 v11, v5, v12
	v_mul_lo_u32 v12, v5, v12
	v_add_co_u32_e32 v8, vcc, v8, v12
	v_mul_hi_u32 v10, v5, v13
	s_nop 0
	v_addc_co_u32_e32 v8, vcc, v9, v11, vcc
	v_mov_b32_e32 v9, v4
	s_nop 0
	v_addc_co_u32_e32 v11, vcc, 0, v10, vcc
	v_mul_lo_u32 v10, v5, v13
	v_lshl_add_u64 v[8:9], v[8:9], 0, v[10:11]
	v_add_co_u32_e32 v1, vcc, v1, v8
	v_mul_lo_u32 v10, s2, v1
	s_nop 0
	v_addc_co_u32_e32 v5, vcc, v5, v9, vcc
	v_mul_lo_u32 v8, s2, v5
	v_mul_hi_u32 v9, s2, v1
	v_add_u32_e32 v8, v9, v8
	v_mul_lo_u32 v9, s3, v1
	v_add_u32_e32 v12, v8, v9
	v_mul_hi_u32 v14, v5, v10
	v_mul_lo_u32 v15, v5, v10
	v_mul_hi_u32 v9, v1, v12
	v_mul_lo_u32 v8, v1, v12
	v_mul_hi_u32 v10, v1, v10
	v_mov_b32_e32 v11, v4
	v_lshl_add_u64 v[8:9], v[10:11], 0, v[8:9]
	v_add_co_u32_e32 v8, vcc, v8, v15
	v_mul_hi_u32 v13, v5, v12
	s_nop 0
	v_addc_co_u32_e32 v8, vcc, v9, v14, vcc
	v_mul_lo_u32 v10, v5, v12
	s_nop 0
	v_addc_co_u32_e32 v11, vcc, 0, v13, vcc
	v_mov_b32_e32 v9, v4
	v_lshl_add_u64 v[8:9], v[8:9], 0, v[10:11]
	v_add_co_u32_e32 v1, vcc, v1, v8
	v_mul_hi_u32 v10, v6, v1
	s_nop 0
	v_addc_co_u32_e32 v5, vcc, v5, v9, vcc
	v_mad_u64_u32 v[8:9], s[2:3], v6, v5, 0
	v_mov_b32_e32 v11, v4
	v_lshl_add_u64 v[8:9], v[10:11], 0, v[8:9]
	v_mad_u64_u32 v[12:13], s[2:3], v7, v1, 0
	v_add_co_u32_e32 v1, vcc, v8, v12
	v_mad_u64_u32 v[10:11], s[2:3], v7, v5, 0
	s_nop 0
	v_addc_co_u32_e32 v8, vcc, v9, v13, vcc
	v_mov_b32_e32 v9, v4
	s_nop 0
	v_addc_co_u32_e32 v11, vcc, 0, v11, vcc
	v_lshl_add_u64 v[8:9], v[8:9], 0, v[10:11]
	v_mul_lo_u32 v1, s19, v8
	v_mul_lo_u32 v5, s18, v9
	v_mad_u64_u32 v[10:11], s[2:3], s18, v8, 0
	v_add3_u32 v1, v11, v5, v1
	v_sub_u32_e32 v5, v7, v1
	v_mov_b32_e32 v11, s19
	v_sub_co_u32_e32 v14, vcc, v6, v10
	v_lshl_add_u64 v[12:13], v[8:9], 0, 1
	s_nop 0
	v_subb_co_u32_e64 v5, s[2:3], v5, v11, vcc
	v_subrev_co_u32_e64 v10, s[2:3], s18, v14
	v_subb_co_u32_e32 v1, vcc, v7, v1, vcc
	s_nop 0
	v_subbrev_co_u32_e64 v5, s[2:3], 0, v5, s[2:3]
	v_cmp_le_u32_e64 s[2:3], s19, v5
	v_cmp_le_u32_e32 vcc, s19, v1
	s_nop 0
	v_cndmask_b32_e64 v11, 0, -1, s[2:3]
	v_cmp_le_u32_e64 s[2:3], s18, v10
	s_nop 1
	v_cndmask_b32_e64 v10, 0, -1, s[2:3]
	v_cmp_eq_u32_e64 s[2:3], s19, v5
	s_nop 1
	v_cndmask_b32_e64 v5, v11, v10, s[2:3]
	v_lshl_add_u64 v[10:11], v[8:9], 0, 2
	v_cmp_ne_u32_e64 s[2:3], 0, v5
	s_nop 1
	v_cndmask_b32_e64 v5, v13, v11, s[2:3]
	v_cndmask_b32_e64 v11, 0, -1, vcc
	v_cmp_le_u32_e32 vcc, s18, v14
	s_nop 1
	v_cndmask_b32_e64 v13, 0, -1, vcc
	v_cmp_eq_u32_e32 vcc, s19, v1
	s_nop 1
	v_cndmask_b32_e32 v1, v11, v13, vcc
	v_cmp_ne_u32_e32 vcc, 0, v1
	v_cndmask_b32_e64 v1, v12, v10, s[2:3]
	s_nop 0
	v_cndmask_b32_e32 v9, v9, v5, vcc
	v_cndmask_b32_e32 v8, v8, v1, vcc
.LBB0_4:                                ;   in Loop: Header=BB0_2 Depth=1
	s_andn2_saveexec_b64 s[2:3], s[20:21]
	s_cbranch_execz .LBB0_6
; %bb.5:                                ;   in Loop: Header=BB0_2 Depth=1
	v_cvt_f32_u32_e32 v1, s18
	s_sub_i32 s20, 0, s18
	v_rcp_iflag_f32_e32 v1, v1
	s_nop 0
	v_mul_f32_e32 v1, 0x4f7ffffe, v1
	v_cvt_u32_f32_e32 v1, v1
	v_mul_lo_u32 v5, s20, v1
	v_mul_hi_u32 v5, v1, v5
	v_add_u32_e32 v1, v1, v5
	v_mul_hi_u32 v1, v6, v1
	v_mul_lo_u32 v5, v1, s18
	v_sub_u32_e32 v5, v6, v5
	v_add_u32_e32 v8, 1, v1
	v_subrev_u32_e32 v9, s18, v5
	v_cmp_le_u32_e32 vcc, s18, v5
	s_nop 1
	v_cndmask_b32_e32 v5, v5, v9, vcc
	v_cndmask_b32_e32 v1, v1, v8, vcc
	v_add_u32_e32 v8, 1, v1
	v_cmp_le_u32_e32 vcc, s18, v5
	v_mov_b32_e32 v9, v4
	s_nop 0
	v_cndmask_b32_e32 v8, v1, v8, vcc
.LBB0_6:                                ;   in Loop: Header=BB0_2 Depth=1
	s_or_b64 exec, exec, s[2:3]
	v_mad_u64_u32 v[10:11], s[2:3], v8, s18, 0
	s_load_dwordx2 s[2:3], s[12:13], 0x0
	v_mul_lo_u32 v1, v9, s18
	v_mul_lo_u32 v5, v8, s19
	v_add3_u32 v1, v11, v5, v1
	v_sub_co_u32_e32 v5, vcc, v6, v10
	s_add_u32 s14, s14, 1
	s_nop 0
	v_subb_co_u32_e32 v1, vcc, v7, v1, vcc
	s_addc_u32 s15, s15, 0
	s_waitcnt lgkmcnt(0)
	v_mul_lo_u32 v1, s2, v1
	v_mul_lo_u32 v6, s3, v5
	v_mad_u64_u32 v[2:3], s[2:3], s2, v5, v[2:3]
	s_add_u32 s12, s12, 8
	v_add3_u32 v3, v6, v3, v1
	s_addc_u32 s13, s13, 0
	v_mov_b64_e32 v[6:7], s[6:7]
	s_add_u32 s16, s16, 8
	v_cmp_ge_u64_e32 vcc, s[14:15], v[6:7]
	s_addc_u32 s17, s17, 0
	s_cbranch_vccnz .LBB0_9
; %bb.7:                                ;   in Loop: Header=BB0_2 Depth=1
	v_mov_b64_e32 v[6:7], v[8:9]
	s_branch .LBB0_2
.LBB0_8:
	v_mov_b64_e32 v[8:9], v[6:7]
.LBB0_9:
	s_lshl_b64 s[2:3], s[6:7], 3
	s_add_u32 s2, s10, s2
	s_addc_u32 s3, s11, s3
	s_load_dwordx2 s[6:7], s[2:3], 0x0
	s_load_dwordx2 s[10:11], s[0:1], 0x20
	s_mov_b32 s2, 0x10624de
	s_waitcnt lgkmcnt(0)
	v_mul_lo_u32 v1, s6, v9
	v_mul_lo_u32 v4, s7, v8
	v_mad_u64_u32 v[2:3], s[0:1], s6, v8, v[2:3]
	v_add3_u32 v3, v4, v3, v1
	v_mul_hi_u32 v1, v0, s2
	v_mul_u32_u24_e32 v1, 0xfa, v1
	v_sub_u32_e32 v22, v0, v1
	v_cmp_gt_u64_e64 s[0:1], s[10:11], v[8:9]
	v_lshl_add_u64 v[20:21], v[2:3], 3, s[8:9]
	v_lshl_add_u32 v24, v22, 3, 0
	s_and_saveexec_b64 s[2:3], s[0:1]
	s_cbranch_execz .LBB0_11
; %bb.10:
	v_mov_b32_e32 v23, 0
	v_lshl_add_u64 v[0:1], v[22:23], 3, v[20:21]
	v_add_co_u32_e32 v2, vcc, 0x1000, v0
	s_nop 1
	v_addc_co_u32_e32 v3, vcc, 0, v1, vcc
	global_load_dwordx2 v[4:5], v[0:1], off
	global_load_dwordx2 v[6:7], v[0:1], off offset:2000
	global_load_dwordx2 v[8:9], v[0:1], off offset:4000
	;; [unrolled: 1-line block ×4, first 2 shown]
	v_add_u32_e32 v0, 0xf80, v24
	s_waitcnt vmcnt(3)
	ds_write2_b64 v24, v[4:5], v[6:7] offset1:250
	s_waitcnt vmcnt(1)
	ds_write2_b64 v0, v[8:9], v[10:11] offset0:4 offset1:254
	s_waitcnt vmcnt(0)
	ds_write_b64 v24, v[12:13] offset:8000
.LBB0_11:
	s_or_b64 exec, exec, s[2:3]
	s_waitcnt lgkmcnt(0)
	s_barrier
	ds_read2_b64 v[2:5], v24 offset1:250
	v_add_u32_e32 v0, 0xf80, v24
	ds_read_b64 v[10:11], v24 offset:8000
	ds_read2_b64 v[6:9], v0 offset0:4 offset1:254
	s_mov_b32 s6, 0x3e9e377a
	s_mov_b32 s2, 0x3f737871
	s_waitcnt lgkmcnt(2)
	v_mov_b32_e32 v0, v4
	s_waitcnt lgkmcnt(1)
	v_mov_b32_e32 v1, v10
	;; [unrolled: 2-line block ×3, first 2 shown]
	v_mov_b32_e32 v13, v8
	v_pk_add_f32 v[14:15], v[0:1], v[12:13] neg_lo:[0,1] neg_hi:[0,1]
	v_pk_add_f32 v[0:1], v[12:13], v[0:1] neg_lo:[0,1] neg_hi:[0,1]
	v_mov_b32_e32 v16, v15
	v_pk_add_f32 v[14:15], v[14:15], v[16:17]
	v_mov_b32_e32 v16, v5
	v_mov_b32_e32 v17, v11
	;; [unrolled: 1-line block ×5, first 2 shown]
	v_pk_add_f32 v[26:27], v[16:17], v[18:19] neg_lo:[0,1] neg_hi:[0,1]
	v_pk_add_f32 v[16:17], v[18:19], v[16:17] neg_lo:[0,1] neg_hi:[0,1]
	v_pk_add_f32 v[12:13], v[0:1], v[12:13]
	v_pk_add_f32 v[0:1], v[2:3], v[4:5]
	v_mov_b32_e32 v28, v27
	v_mov_b32_e32 v18, v17
	v_pk_add_f32 v[0:1], v[0:1], v[6:7]
	v_pk_add_f32 v[26:27], v[26:27], v[28:29]
	;; [unrolled: 1-line block ×4, first 2 shown]
	v_pk_add_f32 v[6:7], v[6:7], v[8:9] neg_lo:[0,1] neg_hi:[0,1]
	v_pk_add_f32 v[28:29], v[4:5], v[10:11] neg_lo:[0,1] neg_hi:[0,1]
	s_mov_b32 s7, 0x3f167918
	v_mov_b32_e32 v15, v7
	v_pk_add_f32 v[4:5], v[4:5], v[10:11]
	v_mov_b32_e32 v27, v6
	v_pk_add_f32 v[0:1], v[0:1], v[8:9]
	v_pk_fma_f32 v[18:19], v[18:19], 0.5, v[2:3] op_sel_hi:[1,0,1] neg_lo:[1,0,0] neg_hi:[1,0,0]
	v_pk_mul_f32 v[30:31], v[28:29], s[2:3] op_sel_hi:[1,0]
	v_mov_b32_e32 v13, v29
	v_mov_b32_e32 v17, v28
	v_pk_mul_f32 v[8:9], v[14:15], s[6:7]
	v_pk_fma_f32 v[2:3], v[4:5], 0.5, v[2:3] op_sel_hi:[1,0,1] neg_lo:[1,0,0] neg_hi:[1,0,0]
	v_pk_mul_f32 v[4:5], v[6:7], s[2:3] op_sel_hi:[1,0]
	v_pk_mul_f32 v[6:7], v[26:27], s[6:7]
	v_pk_mul_f32 v[32:33], v[12:13], s[6:7]
	v_pk_add_f32 v[34:35], v[18:19], v[30:31] op_sel:[0,1] op_sel_hi:[1,0] neg_lo:[0,1] neg_hi:[0,1]
	v_pk_add_f32 v[18:19], v[18:19], v[30:31] op_sel:[0,1] op_sel_hi:[1,0]
	v_pk_mul_f32 v[12:13], v[16:17], s[6:7]
	v_mov_b32_e32 v28, v9
	v_mov_b32_e32 v29, v7
	v_pk_add_f32 v[0:1], v[0:1], v[10:11]
	v_pk_add_f32 v[10:11], v[2:3], v[4:5] op_sel:[0,1] op_sel_hi:[1,0]
	v_pk_add_f32 v[4:5], v[2:3], v[4:5] op_sel:[0,1] op_sel_hi:[1,0] neg_lo:[0,1] neg_hi:[0,1]
	v_pk_add_f32 v[2:3], v[34:35], v[28:29] neg_lo:[0,1] neg_hi:[0,1]
	v_pk_fma_f32 v[14:15], v[26:27], s[6:7], v[18:19]
	v_mov_b32_e32 v9, v6
	v_mov_b32_e32 v6, v33
	;; [unrolled: 1-line block ×4, first 2 shown]
	v_pk_add_f32 v[14:15], v[10:11], v[6:7] neg_lo:[0,1] neg_hi:[0,1]
	v_pk_fma_f32 v[30:31], v[16:17], s[6:7], v[4:5]
	v_pk_add_f32 v[4:5], v[4:5], v[6:7]
	v_pk_fma_f32 v[6:7], v[16:17], s[6:7], v[10:11] neg_lo:[1,0,0] neg_hi:[1,0,0]
	v_mov_b32_e32 v15, v31
	v_mov_b32_e32 v33, v12
	;; [unrolled: 1-line block ×3, first 2 shown]
	v_pk_add_f32 v[12:13], v[32:33], v[14:15]
	v_pk_add_f32 v[14:15], v[32:33], v[4:5]
	;; [unrolled: 1-line block ×3, first 2 shown]
	v_pk_fma_f32 v[6:7], v[26:27], s[6:7], v[34:35] neg_lo:[1,0,0] neg_hi:[1,0,0]
	s_movk_i32 s2, 0x7d
	v_mov_b32_e32 v5, v7
	v_lshl_add_u32 v23, v22, 5, v24
	v_pk_add_f32 v[2:3], v[8:9], v[2:3]
	v_pk_add_f32 v[4:5], v[8:9], v[4:5]
	v_cmp_gt_u32_e32 vcc, s2, v22
	s_barrier
	ds_write2_b64 v23, v[0:1], v[2:3] offset1:1
	ds_write2_b64 v23, v[12:13], v[14:15] offset0:2 offset1:3
	ds_write_b64 v23, v[4:5] offset:32
	s_waitcnt lgkmcnt(0)
	s_barrier
	s_waitcnt lgkmcnt(0)
                                        ; implicit-def: $vgpr11
                                        ; implicit-def: $vgpr18
	s_and_saveexec_b64 s[2:3], vcc
	s_cbranch_execz .LBB0_13
; %bb.12:
	v_add_u32_e32 v4, 0x400, v24
	ds_read2_b64 v[12:15], v4 offset0:122 offset1:247
	v_add_u32_e32 v4, 0xc00, v24
	v_add_u32_e32 v8, 0x1400, v24
	;; [unrolled: 1-line block ×3, first 2 shown]
	ds_read2_b64 v[0:3], v24 offset1:125
	ds_read2_b64 v[4:7], v4 offset0:116 offset1:241
	ds_read2_b64 v[8:11], v8 offset0:110 offset1:235
	;; [unrolled: 1-line block ×3, first 2 shown]
.LBB0_13:
	s_or_b64 exec, exec, s[2:3]
	s_waitcnt lgkmcnt(0)
	s_barrier
	s_and_saveexec_b64 s[2:3], vcc
	s_cbranch_execz .LBB0_15
; %bb.14:
	s_movk_i32 s6, 0xcd
	v_mul_lo_u16_sdwa v23, v22, s6 dst_sel:DWORD dst_unused:UNUSED_PAD src0_sel:BYTE_0 src1_sel:DWORD
	v_lshrrev_b16_e32 v23, 10, v23
	v_mul_lo_u16_e32 v25, 5, v23
	v_sub_u16_e32 v25, v22, v25
	v_mov_b32_e32 v26, 9
	v_mul_u32_u24_sdwa v26, v25, v26 dst_sel:DWORD dst_unused:UNUSED_PAD src0_sel:BYTE_0 src1_sel:DWORD
	v_lshlrev_b32_e32 v44, 3, v26
	global_load_dwordx4 v[26:29], v44, s[4:5]
	global_load_dwordx4 v[30:33], v44, s[4:5] offset:16
	global_load_dwordx4 v[34:37], v44, s[4:5] offset:48
	;; [unrolled: 1-line block ×3, first 2 shown]
	global_load_dwordx2 v[42:43], v44, s[4:5] offset:64
	v_mov_b32_e32 v44, v13
	v_mov_b32_e32 v52, v15
	v_mov_b32_e32 v46, v5
	v_mov_b32_e32 v48, v17
	v_mov_b32_e32 v50, v9
	v_mov_b32_e32 v54, v7
	v_mov_b32_e32 v56, v19
	v_mul_u32_u24_e32 v7, 0x190, v23
	s_mov_b32 s6, 0x3e9e377a
	s_mov_b32 s7, 0x3f167918
	;; [unrolled: 1-line block ×8, first 2 shown]
	s_waitcnt vmcnt(4)
	v_pk_mul_f32 v[44:45], v[44:45], v[28:29] op_sel_hi:[0,1]
	s_waitcnt vmcnt(3)
	v_pk_mul_f32 v[52:53], v[52:53], v[30:31] op_sel_hi:[0,1]
	v_pk_fma_f32 v[58:59], v[12:13], v[28:29], v[44:45] op_sel:[0,0,1] op_sel_hi:[1,1,0]
	v_pk_fma_f32 v[12:13], v[12:13], v[28:29], v[44:45] op_sel:[0,0,1] op_sel_hi:[0,1,0] neg_lo:[1,0,0] neg_hi:[1,0,0]
	v_pk_fma_f32 v[28:29], v[14:15], v[30:31], v[52:53] op_sel:[0,0,1] op_sel_hi:[1,1,0]
	v_pk_fma_f32 v[14:15], v[14:15], v[30:31], v[52:53] op_sel:[0,0,1] op_sel_hi:[0,1,0] neg_lo:[1,0,0] neg_hi:[1,0,0]
	v_pk_mul_f32 v[30:31], v[46:47], v[32:33] op_sel_hi:[0,1]
	v_pk_fma_f32 v[44:45], v[4:5], v[32:33], v[30:31] op_sel:[0,0,1] op_sel_hi:[1,1,0]
	v_pk_fma_f32 v[4:5], v[4:5], v[32:33], v[30:31] op_sel:[0,0,1] op_sel_hi:[0,1,0] neg_lo:[1,0,0] neg_hi:[1,0,0]
	v_mov_b32_e32 v12, v11
	v_mov_b32_e32 v4, v3
	;; [unrolled: 1-line block ×3, first 2 shown]
	v_lshlrev_b32_sdwa v3, v3, v25 dst_sel:DWORD dst_unused:UNUSED_PAD src0_sel:DWORD src1_sel:BYTE_0
	s_waitcnt vmcnt(2)
	v_pk_mul_f32 v[30:31], v[48:49], v[36:37] op_sel_hi:[0,1]
	s_waitcnt vmcnt(1)
	v_pk_mul_f32 v[32:33], v[50:51], v[40:41] op_sel_hi:[0,1]
	v_pk_mul_f32 v[46:47], v[54:55], v[38:39] op_sel_hi:[0,1]
	s_waitcnt vmcnt(0)
	v_pk_mul_f32 v[48:49], v[56:57], v[42:43] op_sel_hi:[0,1]
	v_pk_mul_f32 v[50:51], v[12:13], v[34:35] op_sel_hi:[0,1]
	v_add3_u32 v23, 0, v7, v3
	v_pk_fma_f32 v[54:55], v[6:7], v[38:39], v[46:47] op_sel:[0,0,1] op_sel_hi:[1,1,0]
	v_pk_fma_f32 v[6:7], v[6:7], v[38:39], v[46:47] op_sel:[0,0,1] op_sel_hi:[0,1,0] neg_lo:[1,0,0] neg_hi:[1,0,0]
	v_pk_fma_f32 v[38:39], v[16:17], v[36:37], v[30:31] op_sel:[0,0,1] op_sel_hi:[1,1,0]
	v_pk_fma_f32 v[16:17], v[16:17], v[36:37], v[30:31] op_sel:[0,0,1] op_sel_hi:[0,1,0] neg_lo:[1,0,0] neg_hi:[1,0,0]
	;; [unrolled: 2-line block ×5, first 2 shown]
	v_pk_mul_f32 v[52:53], v[4:5], v[26:27] op_sel_hi:[0,1]
	v_mov_b32_e32 v18, v15
	v_mov_b32_e32 v10, v7
	v_pk_fma_f32 v[34:35], v[2:3], v[26:27], v[52:53] op_sel:[0,0,1] op_sel_hi:[0,1,0]
	v_pk_fma_f32 v[2:3], v[2:3], v[26:27], v[52:53] op_sel:[0,0,1] op_sel_hi:[0,1,0] neg_lo:[1,0,0] neg_hi:[1,0,0]
	v_mov_b32_e32 v45, v5
	v_mov_b32_e32 v31, v9
	;; [unrolled: 1-line block ×6, first 2 shown]
	v_pk_add_f32 v[26:27], v[18:19], v[10:11] neg_lo:[0,1] neg_hi:[0,1]
	v_mov_b32_e32 v55, v7
	v_mov_b32_e32 v37, v11
	v_pk_add_f32 v[6:7], v[4:5], v[8:9] neg_lo:[0,1] neg_hi:[0,1]
	v_pk_add_f32 v[4:5], v[8:9], v[4:5] neg_lo:[0,1] neg_hi:[0,1]
	v_mov_b32_e32 v8, v27
	v_mov_b32_e32 v59, v13
	;; [unrolled: 1-line block ×5, first 2 shown]
	v_pk_add_f32 v[12:13], v[54:55], v[36:37]
	v_pk_add_f32 v[16:17], v[54:55], v[36:37] neg_lo:[0,1] neg_hi:[0,1]
	v_pk_add_f32 v[8:9], v[26:27], v[8:9]
	v_pk_add_f32 v[14:15], v[28:29], v[32:33] neg_lo:[0,1] neg_hi:[0,1]
	v_fma_f32 v13, -0.5, v13, v3
	v_mov_b32_e32 v9, v16
	v_fma_f32 v25, -0.5, v12, v34
	v_mov_b32_e32 v12, v5
	v_fmamk_f32 v26, v14, 0xbf737871, v13
	v_pk_mul_f32 v[8:9], v[8:9], s[6:7]
	v_pk_add_f32 v[10:11], v[10:11], v[18:19] neg_lo:[0,1] neg_hi:[0,1]
	v_mov_b32_e32 v2, v7
	v_pk_add_f32 v[4:5], v[4:5], v[12:13]
	v_sub_f32_e32 v12, v26, v9
	v_pk_add_f32 v[26:27], v[28:29], v[32:33]
	v_mov_b32_e32 v40, v34
	v_mov_b32_e32 v18, v11
	;; [unrolled: 1-line block ×3, first 2 shown]
	v_pk_add_f32 v[6:7], v[6:7], v[2:3]
	v_fmac_f32_e32 v40, -0.5, v26
	v_pk_add_f32 v[10:11], v[10:11], v[18:19]
	v_fmac_f32_e32 v3, -0.5, v27
	v_mov_b32_e32 v7, v17
	v_fmamk_f32 v26, v17, 0xbf737871, v40
	v_fmamk_f32 v18, v16, 0x3f737871, v3
	v_mov_b32_e32 v11, v14
	v_fmac_f32_e32 v40, 0x3f737871, v17
	v_fmac_f32_e32 v3, 0xbf737871, v16
	v_pk_add_f32 v[16:17], v[34:35], v[28:29]
	v_pk_mul_f32 v[10:11], v[10:11], s[6:7]
	v_pk_add_f32 v[16:17], v[16:17], v[54:55]
	v_fmamk_f32 v2, v15, 0x3f737871, v25
	v_mov_b32_e32 v5, v15
	v_pk_mul_f32 v[6:7], v[6:7], s[6:7]
	v_sub_f32_e32 v18, v18, v11
	v_add_f32_e32 v3, v11, v3
	v_fmac_f32_e32 v25, 0xbf737871, v15
	v_pk_add_f32 v[16:17], v[16:17], v[36:37]
	v_pk_mul_f32 v[4:5], v[4:5], s[6:7]
	v_add_f32_e32 v2, v7, v2
	v_add_f32_e32 v18, v10, v18
	v_add_f32_e32 v10, v10, v3
	v_sub_f32_e32 v3, v25, v7
	v_fmac_f32_e32 v13, 0x3f737871, v14
	v_pk_add_f32 v[16:17], v[16:17], v[32:33]
	v_pk_add_f32 v[32:33], v[44:45], v[30:31]
	v_pk_add_f32 v[34:35], v[58:59], v[38:39] neg_lo:[0,1] neg_hi:[0,1]
	v_add_f32_e32 v2, v6, v2
	v_add_f32_e32 v26, v5, v26
	v_sub_f32_e32 v5, v40, v5
	v_add_f32_e32 v6, v6, v3
	v_add_f32_e32 v3, v9, v13
	v_pk_fma_f32 v[32:33], v[32:33], 0.5, v[0:1] op_sel_hi:[1,0,1] neg_lo:[1,0,0] neg_hi:[1,0,0]
	v_pk_mul_f32 v[36:37], v[34:35], s[8:9] op_sel_hi:[1,0]
	v_pk_add_f32 v[40:41], v[44:45], v[30:31] neg_lo:[0,1] neg_hi:[0,1]
	v_pk_add_f32 v[46:47], v[58:59], v[44:45] neg_lo:[0,1] neg_hi:[0,1]
	;; [unrolled: 1-line block ×3, first 2 shown]
	v_add_f32_e32 v12, v8, v12
	v_add_f32_e32 v8, v8, v3
	v_pk_add_f32 v[14:15], v[0:1], v[58:59]
	v_pk_mul_f32 v[42:43], v[40:41], s[10:11] op_sel_hi:[1,0]
	v_pk_add_f32 v[46:47], v[46:47], v[48:49]
	v_pk_add_f32 v[48:49], v[32:33], v[36:37] op_sel:[0,1] op_sel_hi:[1,0] neg_lo:[0,1] neg_hi:[0,1]
	v_pk_add_f32 v[32:33], v[32:33], v[36:37] op_sel:[0,1] op_sel_hi:[1,0]
	v_pk_add_f32 v[14:15], v[14:15], v[44:45]
	v_pk_add_f32 v[32:33], v[32:33], v[42:43] op_sel:[0,1] op_sel_hi:[1,0]
	v_pk_add_f32 v[36:37], v[48:49], v[42:43] op_sel:[0,1] op_sel_hi:[1,0] neg_lo:[0,1] neg_hi:[0,1]
	v_pk_mul_f32 v[8:9], v[8:9], s[14:15] op_sel_hi:[0,1]
	v_pk_add_f32 v[14:15], v[14:15], v[30:31]
	v_mov_b32_e32 v42, v36
	v_mov_b32_e32 v43, v33
	v_pk_fma_f32 v[48:49], v[6:7], s[12:13], v[8:9] neg_lo:[0,0,1] neg_hi:[0,0,1]
	v_pk_fma_f32 v[6:7], v[6:7], s[12:13], v[8:9] op_sel_hi:[0,1,1]
	v_pk_add_f32 v[14:15], v[14:15], v[38:39]
	v_pk_fma_f32 v[42:43], v[46:47], s[6:7], v[42:43] op_sel_hi:[1,0,1]
	v_mov_b32_e32 v49, v7
	v_pk_add_f32 v[28:29], v[14:15], v[16:17]
	v_pk_add_f32 v[6:7], v[42:43], v[48:49]
	ds_write2_b64 v23, v[28:29], v[6:7] offset1:5
	v_pk_add_f32 v[6:7], v[44:45], v[58:59] neg_lo:[0,1] neg_hi:[0,1]
	v_pk_add_f32 v[8:9], v[30:31], v[38:39] neg_lo:[0,1] neg_hi:[0,1]
	s_mov_b32 s9, s6
	v_pk_add_f32 v[6:7], v[6:7], v[8:9]
	v_pk_add_f32 v[8:9], v[58:59], v[38:39]
	v_add_f32_e32 v26, v4, v26
	v_add_f32_e32 v4, v4, v5
	v_pk_fma_f32 v[0:1], v[8:9], 0.5, v[0:1] op_sel_hi:[1,0,1] neg_lo:[1,0,0] neg_hi:[1,0,0]
	s_mov_b32 s12, s6
	s_mov_b32 s13, s8
	v_pk_mul_f32 v[8:9], v[10:11], s[8:9] op_sel_hi:[0,1]
	v_pk_fma_f32 v[10:11], v[4:5], s[12:13], v[8:9] neg_lo:[0,0,1] neg_hi:[0,0,1]
	v_pk_fma_f32 v[4:5], v[4:5], s[12:13], v[8:9] op_sel_hi:[0,1,1]
	v_mov_b32_e32 v11, v5
	v_pk_mul_f32 v[4:5], v[40:41], s[8:9] op_sel_hi:[1,0]
	v_pk_mul_f32 v[8:9], v[34:35], s[10:11] op_sel_hi:[1,0]
	v_pk_add_f32 v[28:29], v[0:1], v[4:5] op_sel:[0,1] op_sel_hi:[1,0]
	v_pk_add_f32 v[0:1], v[0:1], v[4:5] op_sel:[0,1] op_sel_hi:[1,0] neg_lo:[0,1] neg_hi:[0,1]
	v_pk_add_f32 v[4:5], v[28:29], v[8:9] op_sel:[0,1] op_sel_hi:[1,0] neg_lo:[0,1] neg_hi:[0,1]
	v_pk_add_f32 v[0:1], v[0:1], v[8:9] op_sel:[0,1] op_sel_hi:[1,0]
	v_mov_b32_e32 v8, v4
	v_mov_b32_e32 v9, v1
	s_mov_b32 s10, 0xbe9e377a
	s_mov_b32 s11, s8
	v_pk_mul_f32 v[18:19], v[18:19], s[8:9] op_sel_hi:[0,1]
	v_mov_b32_e32 v1, v5
	v_pk_fma_f32 v[8:9], v[6:7], s[6:7], v[8:9] op_sel_hi:[1,0,1]
	v_pk_fma_f32 v[18:19], v[26:27], s[10:11], v[18:19] op_sel_hi:[0,1,1] neg_lo:[0,0,1] neg_hi:[0,0,1]
	v_pk_fma_f32 v[0:1], v[6:7], s[6:7], v[0:1] op_sel_hi:[1,0,1]
	v_pk_add_f32 v[28:29], v[8:9], v[10:11]
	v_pk_add_f32 v[4:5], v[0:1], v[18:19]
	ds_write2_b64 v23, v[28:29], v[4:5] offset0:10 offset1:15
	s_mov_b32 s8, 0xbf4f1bbd
	s_mov_b32 s9, s7
	v_pk_mul_f32 v[4:5], v[12:13], s[14:15] op_sel_hi:[0,1]
	v_mov_b32_e32 v33, v37
	v_pk_fma_f32 v[2:3], v[2:3], s[8:9], v[4:5] op_sel_hi:[0,1,1] neg_lo:[0,0,1] neg_hi:[0,0,1]
	v_pk_fma_f32 v[4:5], v[46:47], s[6:7], v[32:33] op_sel_hi:[1,0,1]
	v_pk_add_f32 v[12:13], v[14:15], v[16:17] neg_lo:[0,1] neg_hi:[0,1]
	v_pk_add_f32 v[6:7], v[4:5], v[2:3]
	ds_write2_b64 v23, v[6:7], v[12:13] offset0:20 offset1:25
	v_pk_add_f32 v[6:7], v[42:43], v[48:49] neg_lo:[0,1] neg_hi:[0,1]
	v_pk_add_f32 v[8:9], v[8:9], v[10:11] neg_lo:[0,1] neg_hi:[0,1]
	;; [unrolled: 1-line block ×4, first 2 shown]
	ds_write2_b64 v23, v[6:7], v[8:9] offset0:30 offset1:35
	ds_write2_b64 v23, v[0:1], v[2:3] offset0:40 offset1:45
.LBB0_15:
	s_or_b64 exec, exec, s[2:3]
	v_mov_b32_e32 v0, 41
	v_mul_lo_u16_sdwa v0, v22, v0 dst_sel:DWORD dst_unused:UNUSED_PAD src0_sel:BYTE_0 src1_sel:DWORD
	v_lshrrev_b16_e32 v23, 11, v0
	v_mul_lo_u16_e32 v0, 50, v23
	v_sub_u16_e32 v25, v22, v0
	v_mov_b32_e32 v0, 5
	v_lshlrev_b32_sdwa v0, v0, v25 dst_sel:DWORD dst_unused:UNUSED_PAD src0_sel:DWORD src1_sel:BYTE_0
	s_waitcnt lgkmcnt(0)
	s_barrier
	global_load_dwordx4 v[2:5], v0, s[4:5] offset:360
	global_load_dwordx4 v[6:9], v0, s[4:5] offset:376
	v_add_u32_e32 v38, 0x7c0, v24
	ds_read2_b32 v[18:19], v24 offset1:1
	v_add_u32_e32 v39, 0x1760, v24
	ds_read2_b64 v[10:13], v38 offset0:2 offset1:252
	ds_read2_b64 v[14:17], v39 offset0:2 offset1:252
	v_mov_b32_e32 v28, 3
	v_lshlrev_b32_e32 v0, 2, v22
	v_mov_b32_e32 v1, 0
	v_lshl_add_u64 v[26:27], v[0:1], 3, s[4:5]
	v_mul_u32_u24_e32 v0, 0x7d0, v23
	v_lshlrev_b32_sdwa v23, v28, v25 dst_sel:DWORD dst_unused:UNUSED_PAD src0_sel:DWORD src1_sel:BYTE_0
	s_mov_b32 s6, 0x3f737871
	s_mov_b32 s8, 0x3f167918
	;; [unrolled: 1-line block ×3, first 2 shown]
	v_add3_u32 v0, 0, v0, v23
	s_waitcnt lgkmcnt(0)
	s_barrier
	s_add_u32 s4, s4, 0x26e8
	s_addc_u32 s5, s5, 0
	s_waitcnt vmcnt(1)
	v_pk_mul_f32 v[28:29], v[2:3], v[10:11] op_sel:[0,1]
	v_pk_mul_f32 v[30:31], v[4:5], v[12:13] op_sel:[0,1]
	s_waitcnt vmcnt(0)
	v_pk_mul_f32 v[32:33], v[6:7], v[14:15] op_sel:[0,1]
	v_pk_mul_f32 v[34:35], v[8:9], v[16:17] op_sel:[0,1]
	v_pk_fma_f32 v[36:37], v[2:3], v[10:11], v[28:29] op_sel:[0,0,1] op_sel_hi:[1,1,0]
	v_pk_fma_f32 v[2:3], v[2:3], v[10:11], v[28:29] op_sel:[0,0,1] op_sel_hi:[1,0,0] neg_lo:[1,0,0] neg_hi:[1,0,0]
	v_pk_fma_f32 v[10:11], v[4:5], v[12:13], v[30:31] op_sel:[0,0,1] op_sel_hi:[1,1,0]
	v_pk_fma_f32 v[4:5], v[4:5], v[12:13], v[30:31] op_sel:[0,0,1] op_sel_hi:[1,0,0] neg_lo:[1,0,0] neg_hi:[1,0,0]
	;; [unrolled: 2-line block ×4, first 2 shown]
	v_mov_b32_e32 v37, v3
	v_mov_b32_e32 v11, v5
	;; [unrolled: 1-line block ×4, first 2 shown]
	v_pk_add_f32 v[2:3], v[36:37], v[18:19]
	v_pk_add_f32 v[4:5], v[10:11], v[12:13]
	v_pk_add_f32 v[6:7], v[36:37], v[14:15] neg_lo:[0,1] neg_hi:[0,1]
	v_pk_add_f32 v[8:9], v[10:11], v[12:13] neg_lo:[0,1] neg_hi:[0,1]
	v_pk_add_f32 v[30:31], v[36:37], v[14:15]
	v_pk_add_f32 v[16:17], v[36:37], v[10:11] neg_lo:[0,1] neg_hi:[0,1]
	v_pk_add_f32 v[32:33], v[10:11], v[36:37] neg_lo:[0,1] neg_hi:[0,1]
	v_pk_add_f32 v[2:3], v[2:3], v[10:11]
	v_pk_fma_f32 v[4:5], v[4:5], 0.5, v[18:19] op_sel_hi:[1,0,1] neg_lo:[1,0,0] neg_hi:[1,0,0]
	v_pk_mul_f32 v[10:11], v[6:7], s[6:7] op_sel_hi:[1,0]
	v_pk_mul_f32 v[36:37], v[8:9], s[8:9] op_sel_hi:[1,0]
	v_pk_fma_f32 v[18:19], v[30:31], 0.5, v[18:19] op_sel_hi:[1,0,1] neg_lo:[1,0,0] neg_hi:[1,0,0]
	v_pk_mul_f32 v[8:9], v[8:9], s[6:7] op_sel_hi:[1,0]
	v_pk_add_f32 v[28:29], v[14:15], v[12:13] neg_lo:[0,1] neg_hi:[0,1]
	v_pk_add_f32 v[34:35], v[12:13], v[14:15] neg_lo:[0,1] neg_hi:[0,1]
	v_pk_mul_f32 v[6:7], v[6:7], s[8:9] op_sel_hi:[1,0]
	v_pk_add_f32 v[2:3], v[2:3], v[12:13]
	v_pk_add_f32 v[12:13], v[4:5], v[10:11] op_sel:[0,1] op_sel_hi:[1,0] neg_lo:[0,1] neg_hi:[0,1]
	v_pk_add_f32 v[4:5], v[4:5], v[10:11] op_sel:[0,1] op_sel_hi:[1,0]
	v_pk_add_f32 v[10:11], v[18:19], v[8:9] op_sel:[0,1] op_sel_hi:[1,0]
	v_pk_add_f32 v[8:9], v[18:19], v[8:9] op_sel:[0,1] op_sel_hi:[1,0] neg_lo:[0,1] neg_hi:[0,1]
	v_pk_add_f32 v[4:5], v[4:5], v[36:37] op_sel:[0,1] op_sel_hi:[1,0]
	v_pk_add_f32 v[12:13], v[12:13], v[36:37] op_sel:[0,1] op_sel_hi:[1,0] neg_lo:[0,1] neg_hi:[0,1]
	;; [unrolled: 2-line block ×3, first 2 shown]
	v_pk_add_f32 v[16:17], v[16:17], v[28:29]
	v_pk_add_f32 v[28:29], v[32:33], v[34:35]
	;; [unrolled: 1-line block ×3, first 2 shown]
	v_mov_b32_e32 v10, v12
	v_mov_b32_e32 v11, v5
	;; [unrolled: 1-line block ×6, first 2 shown]
	v_pk_fma_f32 v[6:7], v[16:17], s[2:3], v[10:11] op_sel_hi:[1,0,1]
	v_pk_fma_f32 v[8:9], v[28:29], s[2:3], v[8:9] op_sel_hi:[1,0,1]
	;; [unrolled: 1-line block ×4, first 2 shown]
	ds_write2_b64 v0, v[2:3], v[6:7] offset1:50
	ds_write2_b64 v0, v[10:11], v[8:9] offset0:100 offset1:150
	ds_write_b64 v0, v[4:5] offset:1600
	s_waitcnt lgkmcnt(0)
	s_barrier
	global_load_dwordx4 v[2:5], v[26:27], off offset:1960
	global_load_dwordx4 v[6:9], v[26:27], off offset:1976
	ds_read2_b32 v[18:19], v24 offset1:1
	ds_read2_b64 v[10:13], v38 offset0:2 offset1:252
	ds_read2_b64 v[14:17], v39 offset0:2 offset1:252
	v_add_u32_e32 v0, 0xf80, v24
	s_waitcnt lgkmcnt(0)
	s_barrier
	s_waitcnt vmcnt(1)
	v_pk_mul_f32 v[26:27], v[2:3], v[10:11] op_sel:[0,1]
	v_pk_mul_f32 v[28:29], v[4:5], v[12:13] op_sel:[0,1]
	s_waitcnt vmcnt(0)
	v_pk_mul_f32 v[30:31], v[6:7], v[14:15] op_sel:[0,1]
	v_pk_mul_f32 v[32:33], v[8:9], v[16:17] op_sel:[0,1]
	v_pk_fma_f32 v[34:35], v[2:3], v[10:11], v[26:27] op_sel:[0,0,1] op_sel_hi:[1,1,0]
	v_pk_fma_f32 v[2:3], v[2:3], v[10:11], v[26:27] op_sel:[0,0,1] op_sel_hi:[1,0,0] neg_lo:[1,0,0] neg_hi:[1,0,0]
	v_pk_fma_f32 v[10:11], v[4:5], v[12:13], v[28:29] op_sel:[0,0,1] op_sel_hi:[1,1,0]
	v_pk_fma_f32 v[4:5], v[4:5], v[12:13], v[28:29] op_sel:[0,0,1] op_sel_hi:[1,0,0] neg_lo:[1,0,0] neg_hi:[1,0,0]
	;; [unrolled: 2-line block ×4, first 2 shown]
	v_mov_b32_e32 v35, v3
	v_mov_b32_e32 v11, v5
	;; [unrolled: 1-line block ×4, first 2 shown]
	v_pk_add_f32 v[2:3], v[34:35], v[18:19]
	v_pk_add_f32 v[4:5], v[10:11], v[12:13]
	v_pk_add_f32 v[6:7], v[34:35], v[14:15] neg_lo:[0,1] neg_hi:[0,1]
	v_pk_add_f32 v[8:9], v[10:11], v[12:13] neg_lo:[0,1] neg_hi:[0,1]
	;; [unrolled: 1-line block ×3, first 2 shown]
	v_pk_add_f32 v[28:29], v[34:35], v[14:15]
	v_pk_add_f32 v[30:31], v[10:11], v[34:35] neg_lo:[0,1] neg_hi:[0,1]
	v_pk_add_f32 v[2:3], v[2:3], v[10:11]
	v_pk_fma_f32 v[4:5], v[4:5], 0.5, v[18:19] op_sel_hi:[1,0,1] neg_lo:[1,0,0] neg_hi:[1,0,0]
	v_pk_mul_f32 v[10:11], v[6:7], s[6:7] op_sel_hi:[1,0]
	v_pk_add_f32 v[26:27], v[14:15], v[12:13] neg_lo:[0,1] neg_hi:[0,1]
	v_pk_add_f32 v[32:33], v[12:13], v[14:15] neg_lo:[0,1] neg_hi:[0,1]
	v_pk_mul_f32 v[34:35], v[8:9], s[8:9] op_sel_hi:[1,0]
	v_pk_fma_f32 v[18:19], v[28:29], 0.5, v[18:19] op_sel_hi:[1,0,1] neg_lo:[1,0,0] neg_hi:[1,0,0]
	v_pk_mul_f32 v[8:9], v[8:9], s[6:7] op_sel_hi:[1,0]
	v_pk_add_f32 v[2:3], v[2:3], v[12:13]
	v_pk_add_f32 v[12:13], v[4:5], v[10:11] op_sel:[0,1] op_sel_hi:[1,0] neg_lo:[0,1] neg_hi:[0,1]
	v_pk_add_f32 v[4:5], v[4:5], v[10:11] op_sel:[0,1] op_sel_hi:[1,0]
	v_pk_mul_f32 v[6:7], v[6:7], s[8:9] op_sel_hi:[1,0]
	v_pk_add_f32 v[10:11], v[18:19], v[8:9] op_sel:[0,1] op_sel_hi:[1,0]
	v_pk_add_f32 v[8:9], v[18:19], v[8:9] op_sel:[0,1] op_sel_hi:[1,0] neg_lo:[0,1] neg_hi:[0,1]
	v_pk_add_f32 v[4:5], v[4:5], v[34:35] op_sel:[0,1] op_sel_hi:[1,0]
	v_pk_add_f32 v[12:13], v[12:13], v[34:35] op_sel:[0,1] op_sel_hi:[1,0] neg_lo:[0,1] neg_hi:[0,1]
	v_pk_add_f32 v[16:17], v[16:17], v[26:27]
	v_pk_add_f32 v[8:9], v[8:9], v[6:7] op_sel:[0,1] op_sel_hi:[1,0]
	v_pk_add_f32 v[6:7], v[10:11], v[6:7] op_sel:[0,1] op_sel_hi:[1,0] neg_lo:[0,1] neg_hi:[0,1]
	v_mov_b32_e32 v10, v12
	v_mov_b32_e32 v11, v5
	v_pk_add_f32 v[26:27], v[30:31], v[32:33]
	v_pk_add_f32 v[2:3], v[2:3], v[14:15]
	v_mov_b32_e32 v14, v6
	v_mov_b32_e32 v15, v9
	;; [unrolled: 1-line block ×4, first 2 shown]
	v_pk_fma_f32 v[6:7], v[16:17], s[2:3], v[10:11] op_sel_hi:[1,0,1]
	v_pk_fma_f32 v[10:11], v[26:27], s[2:3], v[14:15] op_sel_hi:[1,0,1]
	;; [unrolled: 1-line block ×4, first 2 shown]
	ds_write2_b64 v24, v[2:3], v[6:7] offset1:250
	ds_write2_b64 v0, v[10:11], v[8:9] offset0:4 offset1:254
	ds_write_b64 v24, v[4:5] offset:8000
	s_waitcnt lgkmcnt(0)
	s_barrier
	ds_read_b64 v[6:7], v24
	v_lshlrev_b32_e32 v0, 3, v22
	v_sub_u32_e32 v8, 0, v0
	v_cmp_ne_u32_e64 s[2:3], 0, v22
                                        ; implicit-def: $vgpr5
                                        ; implicit-def: $vgpr0
                                        ; implicit-def: $vgpr2_vgpr3
	s_and_saveexec_b64 s[6:7], s[2:3]
	s_xor_b64 s[2:3], exec, s[6:7]
	s_cbranch_execz .LBB0_17
; %bb.16:
	v_mov_b32_e32 v23, v1
	v_lshl_add_u64 v[0:1], v[22:23], 3, s[4:5]
	global_load_dwordx2 v[0:1], v[0:1], off
	ds_read_b64 v[2:3], v8 offset:10000
	s_waitcnt lgkmcnt(0)
	v_pk_add_f32 v[4:5], v[2:3], v[6:7]
	v_pk_add_f32 v[2:3], v[6:7], v[2:3] neg_lo:[0,1] neg_hi:[0,1]
	v_pk_mul_f32 v[6:7], v[4:5], 0.5 op_sel_hi:[1,0]
	v_mul_f32_e32 v9, 0.5, v2
	v_mul_f32_e32 v11, 0.5, v3
	s_waitcnt vmcnt(0)
	v_mul_f32_e32 v2, v1, v9
	v_mov_b32_e32 v3, v0
	v_fma_f32 v10, v1, v9, v6
	v_fma_f32 v12, v7, v1, v11
	v_fma_f32 v1, v7, v1, -v11
	v_pk_mul_f32 v[6:7], v[6:7], v[2:3]
	v_pk_fma_f32 v[2:3], v[4:5], 0.5, v[2:3] op_sel_hi:[1,0,1] neg_lo:[0,0,1] neg_hi:[0,0,1]
	v_mov_b32_e32 v11, v7
	v_fma_f32 v3, -v0, v9, v12
	v_fma_f32 v0, -v0, v9, v1
	v_mov_b32_e32 v1, v2
	ds_write_b32 v24, v3 offset:4
	ds_write_b32 v8, v0 offset:10004
	v_add_f32_e32 v0, v7, v10
	v_pk_add_f32 v[4:5], v[0:1], v[10:11] neg_lo:[0,1] neg_hi:[0,1]
	v_mov_b64_e32 v[2:3], v[22:23]
                                        ; implicit-def: $vgpr6_vgpr7
.LBB0_17:
	s_andn2_saveexec_b64 s[2:3], s[2:3]
	s_cbranch_execz .LBB0_19
; %bb.18:
	v_mov_b32_e32 v1, 0
	ds_write_b32 v24, v1 offset:4
	ds_write_b32 v8, v1 offset:10004
	ds_read_b32 v2, v1 offset:5004
	s_waitcnt lgkmcnt(3)
	v_pk_add_f32 v[4:5], v[6:7], v[6:7] op_sel:[0,1] op_sel_hi:[0,1] neg_lo:[0,1] neg_hi:[0,1]
	v_add_f32_e32 v0, v6, v7
	s_waitcnt lgkmcnt(0)
	v_xor_b32_e32 v2, 0x80000000, v2
	ds_write_b32 v1, v2 offset:5004
	v_mov_b64_e32 v[2:3], 0
.LBB0_19:
	s_or_b64 exec, exec, s[2:3]
	s_waitcnt lgkmcnt(0)
	v_lshl_add_u64 v[6:7], v[2:3], 3, s[4:5]
	global_load_dwordx2 v[10:11], v[6:7], off offset:2000
	ds_write_b32 v24, v0
	ds_write_b32 v8, v5 offset:10000
	ds_read_b64 v[4:5], v24 offset:2000
	ds_read_b64 v[12:13], v8 offset:8000
	v_mov_b32_e32 v1, 0.5
	v_mov_b32_e32 v14, v1
	s_waitcnt lgkmcnt(0)
	v_pk_add_f32 v[16:17], v[4:5], v[12:13]
	v_pk_add_f32 v[4:5], v[4:5], v[12:13] neg_lo:[0,1] neg_hi:[0,1]
	v_mov_b32_e32 v12, v17
	v_mov_b32_e32 v13, v4
	v_pk_mul_f32 v[12:13], v[12:13], 0.5 op_sel_hi:[1,0]
	s_waitcnt vmcnt(0)
	v_mov_b32_e32 v0, v11
	v_mov_b32_e32 v4, v13
	;; [unrolled: 1-line block ×4, first 2 shown]
	v_pk_mul_f32 v[4:5], v[0:1], v[4:5]
	s_nop 0
	v_pk_fma_f32 v[18:19], v[16:17], v[14:15], v[4:5]
	v_pk_fma_f32 v[4:5], v[16:17], v[14:15], v[4:5] neg_lo:[0,0,1] neg_hi:[0,0,1]
	v_pk_fma_f32 v[14:15], v[10:11], v[12:13], v[18:19]
	v_pk_fma_f32 v[16:17], v[10:11], v[12:13], v[18:19] op_sel_hi:[0,1,1] neg_lo:[1,0,0] neg_hi:[1,0,0]
	v_mov_b32_e32 v15, v17
	v_pk_fma_f32 v[4:5], v[10:11], v[12:13], v[4:5] op_sel_hi:[0,1,1] neg_lo:[1,0,0] neg_hi:[1,0,0]
	ds_write_b64 v24, v[14:15] offset:2000
	ds_write_b64 v8, v[4:5] offset:8000
	s_and_saveexec_b64 s[2:3], vcc
	s_cbranch_execz .LBB0_21
; %bb.20:
	global_load_dwordx2 v[4:5], v[6:7], off offset:4000
	ds_read_b64 v[6:7], v24 offset:4000
	ds_read_b64 v[10:11], v8 offset:6000
	v_mov_b32_e32 v12, v1
	s_waitcnt lgkmcnt(0)
	v_pk_add_f32 v[14:15], v[6:7], v[10:11]
	v_pk_add_f32 v[6:7], v[6:7], v[10:11] neg_lo:[0,1] neg_hi:[0,1]
	v_mov_b32_e32 v10, v15
	v_mov_b32_e32 v11, v6
	v_pk_mul_f32 v[10:11], v[10:11], 0.5 op_sel_hi:[1,0]
	s_waitcnt vmcnt(0)
	v_mov_b32_e32 v0, v5
	v_mov_b32_e32 v6, v11
	;; [unrolled: 1-line block ×4, first 2 shown]
	v_pk_mul_f32 v[0:1], v[0:1], v[6:7]
	s_nop 0
	v_pk_fma_f32 v[6:7], v[14:15], v[12:13], v[0:1]
	v_pk_fma_f32 v[0:1], v[14:15], v[12:13], v[0:1] neg_lo:[0,0,1] neg_hi:[0,0,1]
	v_pk_fma_f32 v[12:13], v[4:5], v[10:11], v[6:7]
	v_pk_fma_f32 v[6:7], v[4:5], v[10:11], v[6:7] op_sel_hi:[0,1,1] neg_lo:[1,0,0] neg_hi:[1,0,0]
	v_mov_b32_e32 v13, v7
	v_pk_fma_f32 v[0:1], v[4:5], v[10:11], v[0:1] op_sel_hi:[0,1,1] neg_lo:[1,0,0] neg_hi:[1,0,0]
	ds_write_b64 v24, v[12:13] offset:4000
	ds_write_b64 v8, v[0:1] offset:6000
.LBB0_21:
	s_or_b64 exec, exec, s[2:3]
	s_waitcnt lgkmcnt(0)
	s_barrier
	s_and_saveexec_b64 s[2:3], s[0:1]
	s_cbranch_execz .LBB0_24
; %bb.22:
	ds_read2_b64 v[4:7], v24 offset1:250
	v_add_u32_e32 v0, 0xf80, v24
	ds_read2_b64 v[8:11], v0 offset0:4 offset1:254
	v_lshl_add_u64 v[0:1], v[2:3], 3, v[20:21]
	s_movk_i32 s0, 0xf9
	s_waitcnt lgkmcnt(1)
	global_store_dwordx2 v[0:1], v[4:5], off
	global_store_dwordx2 v[0:1], v[6:7], off offset:2000
	s_waitcnt lgkmcnt(0)
	global_store_dwordx2 v[0:1], v[8:9], off offset:4000
	ds_read_b64 v[2:3], v24 offset:8000
	v_add_co_u32_e32 v0, vcc, 0x1000, v0
	s_nop 1
	v_addc_co_u32_e32 v1, vcc, 0, v1, vcc
	v_cmp_eq_u32_e32 vcc, s0, v22
	global_store_dwordx2 v[0:1], v[10:11], off offset:1904
	s_waitcnt lgkmcnt(0)
	global_store_dwordx2 v[0:1], v[2:3], off offset:3904
	s_and_b64 exec, exec, vcc
	s_cbranch_execz .LBB0_24
; %bb.23:
	v_mov_b32_e32 v0, 0
	ds_read_b64 v[0:1], v0 offset:10000
	v_add_co_u32_e32 v2, vcc, 0x2000, v20
	s_nop 1
	v_addc_co_u32_e32 v3, vcc, 0, v21, vcc
	s_waitcnt lgkmcnt(0)
	global_store_dwordx2 v[2:3], v[0:1], off offset:1808
.LBB0_24:
	s_endpgm
	.section	.rodata,"a",@progbits
	.p2align	6, 0x0
	.amdhsa_kernel fft_rtc_back_len1250_factors_5_10_5_5_wgs_250_tpt_250_halfLds_sp_ip_CI_unitstride_sbrr_R2C_dirReg
		.amdhsa_group_segment_fixed_size 0
		.amdhsa_private_segment_fixed_size 0
		.amdhsa_kernarg_size 88
		.amdhsa_user_sgpr_count 2
		.amdhsa_user_sgpr_dispatch_ptr 0
		.amdhsa_user_sgpr_queue_ptr 0
		.amdhsa_user_sgpr_kernarg_segment_ptr 1
		.amdhsa_user_sgpr_dispatch_id 0
		.amdhsa_user_sgpr_kernarg_preload_length 0
		.amdhsa_user_sgpr_kernarg_preload_offset 0
		.amdhsa_user_sgpr_private_segment_size 0
		.amdhsa_uses_dynamic_stack 0
		.amdhsa_enable_private_segment 0
		.amdhsa_system_sgpr_workgroup_id_x 1
		.amdhsa_system_sgpr_workgroup_id_y 0
		.amdhsa_system_sgpr_workgroup_id_z 0
		.amdhsa_system_sgpr_workgroup_info 0
		.amdhsa_system_vgpr_workitem_id 0
		.amdhsa_next_free_vgpr 60
		.amdhsa_next_free_sgpr 22
		.amdhsa_accum_offset 60
		.amdhsa_reserve_vcc 1
		.amdhsa_float_round_mode_32 0
		.amdhsa_float_round_mode_16_64 0
		.amdhsa_float_denorm_mode_32 3
		.amdhsa_float_denorm_mode_16_64 3
		.amdhsa_dx10_clamp 1
		.amdhsa_ieee_mode 1
		.amdhsa_fp16_overflow 0
		.amdhsa_tg_split 0
		.amdhsa_exception_fp_ieee_invalid_op 0
		.amdhsa_exception_fp_denorm_src 0
		.amdhsa_exception_fp_ieee_div_zero 0
		.amdhsa_exception_fp_ieee_overflow 0
		.amdhsa_exception_fp_ieee_underflow 0
		.amdhsa_exception_fp_ieee_inexact 0
		.amdhsa_exception_int_div_zero 0
	.end_amdhsa_kernel
	.text
.Lfunc_end0:
	.size	fft_rtc_back_len1250_factors_5_10_5_5_wgs_250_tpt_250_halfLds_sp_ip_CI_unitstride_sbrr_R2C_dirReg, .Lfunc_end0-fft_rtc_back_len1250_factors_5_10_5_5_wgs_250_tpt_250_halfLds_sp_ip_CI_unitstride_sbrr_R2C_dirReg
                                        ; -- End function
	.section	.AMDGPU.csdata,"",@progbits
; Kernel info:
; codeLenInByte = 5284
; NumSgprs: 28
; NumVgprs: 60
; NumAgprs: 0
; TotalNumVgprs: 60
; ScratchSize: 0
; MemoryBound: 0
; FloatMode: 240
; IeeeMode: 1
; LDSByteSize: 0 bytes/workgroup (compile time only)
; SGPRBlocks: 3
; VGPRBlocks: 7
; NumSGPRsForWavesPerEU: 28
; NumVGPRsForWavesPerEU: 60
; AccumOffset: 60
; Occupancy: 8
; WaveLimiterHint : 1
; COMPUTE_PGM_RSRC2:SCRATCH_EN: 0
; COMPUTE_PGM_RSRC2:USER_SGPR: 2
; COMPUTE_PGM_RSRC2:TRAP_HANDLER: 0
; COMPUTE_PGM_RSRC2:TGID_X_EN: 1
; COMPUTE_PGM_RSRC2:TGID_Y_EN: 0
; COMPUTE_PGM_RSRC2:TGID_Z_EN: 0
; COMPUTE_PGM_RSRC2:TIDIG_COMP_CNT: 0
; COMPUTE_PGM_RSRC3_GFX90A:ACCUM_OFFSET: 14
; COMPUTE_PGM_RSRC3_GFX90A:TG_SPLIT: 0
	.text
	.p2alignl 6, 3212836864
	.fill 256, 4, 3212836864
	.type	__hip_cuid_72d990a30e801401,@object ; @__hip_cuid_72d990a30e801401
	.section	.bss,"aw",@nobits
	.globl	__hip_cuid_72d990a30e801401
__hip_cuid_72d990a30e801401:
	.byte	0                               ; 0x0
	.size	__hip_cuid_72d990a30e801401, 1

	.ident	"AMD clang version 19.0.0git (https://github.com/RadeonOpenCompute/llvm-project roc-6.4.0 25133 c7fe45cf4b819c5991fe208aaa96edf142730f1d)"
	.section	".note.GNU-stack","",@progbits
	.addrsig
	.addrsig_sym __hip_cuid_72d990a30e801401
	.amdgpu_metadata
---
amdhsa.kernels:
  - .agpr_count:     0
    .args:
      - .actual_access:  read_only
        .address_space:  global
        .offset:         0
        .size:           8
        .value_kind:     global_buffer
      - .offset:         8
        .size:           8
        .value_kind:     by_value
      - .actual_access:  read_only
        .address_space:  global
        .offset:         16
        .size:           8
        .value_kind:     global_buffer
      - .actual_access:  read_only
        .address_space:  global
        .offset:         24
        .size:           8
        .value_kind:     global_buffer
      - .offset:         32
        .size:           8
        .value_kind:     by_value
      - .actual_access:  read_only
        .address_space:  global
        .offset:         40
        .size:           8
        .value_kind:     global_buffer
      - .actual_access:  read_only
        .address_space:  global
        .offset:         48
        .size:           8
        .value_kind:     global_buffer
      - .offset:         56
        .size:           4
        .value_kind:     by_value
      - .actual_access:  read_only
        .address_space:  global
        .offset:         64
        .size:           8
        .value_kind:     global_buffer
      - .actual_access:  read_only
        .address_space:  global
        .offset:         72
        .size:           8
        .value_kind:     global_buffer
      - .address_space:  global
        .offset:         80
        .size:           8
        .value_kind:     global_buffer
    .group_segment_fixed_size: 0
    .kernarg_segment_align: 8
    .kernarg_segment_size: 88
    .language:       OpenCL C
    .language_version:
      - 2
      - 0
    .max_flat_workgroup_size: 250
    .name:           fft_rtc_back_len1250_factors_5_10_5_5_wgs_250_tpt_250_halfLds_sp_ip_CI_unitstride_sbrr_R2C_dirReg
    .private_segment_fixed_size: 0
    .sgpr_count:     28
    .sgpr_spill_count: 0
    .symbol:         fft_rtc_back_len1250_factors_5_10_5_5_wgs_250_tpt_250_halfLds_sp_ip_CI_unitstride_sbrr_R2C_dirReg.kd
    .uniform_work_group_size: 1
    .uses_dynamic_stack: false
    .vgpr_count:     60
    .vgpr_spill_count: 0
    .wavefront_size: 64
amdhsa.target:   amdgcn-amd-amdhsa--gfx950
amdhsa.version:
  - 1
  - 2
...

	.end_amdgpu_metadata
